;; amdgpu-corpus repo=ROCm/rocFFT kind=compiled arch=gfx1030 opt=O3
	.text
	.amdgcn_target "amdgcn-amd-amdhsa--gfx1030"
	.amdhsa_code_object_version 6
	.protected	fft_rtc_back_len1664_factors_13_2_2_4_2_2_2_wgs_208_tpt_208_halfLds_half_ip_CI_unitstride_sbrr_C2R_dirReg ; -- Begin function fft_rtc_back_len1664_factors_13_2_2_4_2_2_2_wgs_208_tpt_208_halfLds_half_ip_CI_unitstride_sbrr_C2R_dirReg
	.globl	fft_rtc_back_len1664_factors_13_2_2_4_2_2_2_wgs_208_tpt_208_halfLds_half_ip_CI_unitstride_sbrr_C2R_dirReg
	.p2align	8
	.type	fft_rtc_back_len1664_factors_13_2_2_4_2_2_2_wgs_208_tpt_208_halfLds_half_ip_CI_unitstride_sbrr_C2R_dirReg,@function
fft_rtc_back_len1664_factors_13_2_2_4_2_2_2_wgs_208_tpt_208_halfLds_half_ip_CI_unitstride_sbrr_C2R_dirReg: ; @fft_rtc_back_len1664_factors_13_2_2_4_2_2_2_wgs_208_tpt_208_halfLds_half_ip_CI_unitstride_sbrr_C2R_dirReg
; %bb.0:
	s_clause 0x2
	s_load_dwordx4 s[8:11], s[4:5], 0x0
	s_load_dwordx2 s[2:3], s[4:5], 0x50
	s_load_dwordx2 s[12:13], s[4:5], 0x18
	v_mul_u32_u24_e32 v1, 0x13c, v0
	v_mov_b32_e32 v3, 0
	v_add_nc_u32_sdwa v5, s6, v1 dst_sel:DWORD dst_unused:UNUSED_PAD src0_sel:DWORD src1_sel:WORD_1
	v_mov_b32_e32 v1, 0
	v_mov_b32_e32 v6, v3
	v_mov_b32_e32 v2, 0
	s_waitcnt lgkmcnt(0)
	v_cmp_lt_u64_e64 s0, s[10:11], 2
	s_and_b32 vcc_lo, exec_lo, s0
	s_cbranch_vccnz .LBB0_8
; %bb.1:
	s_load_dwordx2 s[0:1], s[4:5], 0x10
	v_mov_b32_e32 v1, 0
	s_add_u32 s6, s12, 8
	v_mov_b32_e32 v2, 0
	s_addc_u32 s7, s13, 0
	s_mov_b64 s[16:17], 1
	s_waitcnt lgkmcnt(0)
	s_add_u32 s14, s0, 8
	s_addc_u32 s15, s1, 0
.LBB0_2:                                ; =>This Inner Loop Header: Depth=1
	s_load_dwordx2 s[18:19], s[14:15], 0x0
                                        ; implicit-def: $vgpr7_vgpr8
	s_mov_b32 s0, exec_lo
	s_waitcnt lgkmcnt(0)
	v_or_b32_e32 v4, s19, v6
	v_cmpx_ne_u64_e32 0, v[3:4]
	s_xor_b32 s1, exec_lo, s0
	s_cbranch_execz .LBB0_4
; %bb.3:                                ;   in Loop: Header=BB0_2 Depth=1
	v_cvt_f32_u32_e32 v4, s18
	v_cvt_f32_u32_e32 v7, s19
	s_sub_u32 s0, 0, s18
	s_subb_u32 s20, 0, s19
	v_fmac_f32_e32 v4, 0x4f800000, v7
	v_rcp_f32_e32 v4, v4
	v_mul_f32_e32 v4, 0x5f7ffffc, v4
	v_mul_f32_e32 v7, 0x2f800000, v4
	v_trunc_f32_e32 v7, v7
	v_fmac_f32_e32 v4, 0xcf800000, v7
	v_cvt_u32_f32_e32 v7, v7
	v_cvt_u32_f32_e32 v4, v4
	v_mul_lo_u32 v8, s0, v7
	v_mul_hi_u32 v9, s0, v4
	v_mul_lo_u32 v10, s20, v4
	v_add_nc_u32_e32 v8, v9, v8
	v_mul_lo_u32 v9, s0, v4
	v_add_nc_u32_e32 v8, v8, v10
	v_mul_hi_u32 v10, v4, v9
	v_mul_lo_u32 v11, v4, v8
	v_mul_hi_u32 v12, v4, v8
	v_mul_hi_u32 v13, v7, v9
	v_mul_lo_u32 v9, v7, v9
	v_mul_hi_u32 v14, v7, v8
	v_mul_lo_u32 v8, v7, v8
	v_add_co_u32 v10, vcc_lo, v10, v11
	v_add_co_ci_u32_e32 v11, vcc_lo, 0, v12, vcc_lo
	v_add_co_u32 v9, vcc_lo, v10, v9
	v_add_co_ci_u32_e32 v9, vcc_lo, v11, v13, vcc_lo
	v_add_co_ci_u32_e32 v10, vcc_lo, 0, v14, vcc_lo
	v_add_co_u32 v8, vcc_lo, v9, v8
	v_add_co_ci_u32_e32 v9, vcc_lo, 0, v10, vcc_lo
	v_add_co_u32 v4, vcc_lo, v4, v8
	v_add_co_ci_u32_e32 v7, vcc_lo, v7, v9, vcc_lo
	v_mul_hi_u32 v8, s0, v4
	v_mul_lo_u32 v10, s20, v4
	v_mul_lo_u32 v9, s0, v7
	v_add_nc_u32_e32 v8, v8, v9
	v_mul_lo_u32 v9, s0, v4
	v_add_nc_u32_e32 v8, v8, v10
	v_mul_hi_u32 v10, v4, v9
	v_mul_lo_u32 v11, v4, v8
	v_mul_hi_u32 v12, v4, v8
	v_mul_hi_u32 v13, v7, v9
	v_mul_lo_u32 v9, v7, v9
	v_mul_hi_u32 v14, v7, v8
	v_mul_lo_u32 v8, v7, v8
	v_add_co_u32 v10, vcc_lo, v10, v11
	v_add_co_ci_u32_e32 v11, vcc_lo, 0, v12, vcc_lo
	v_add_co_u32 v9, vcc_lo, v10, v9
	v_add_co_ci_u32_e32 v9, vcc_lo, v11, v13, vcc_lo
	v_add_co_ci_u32_e32 v10, vcc_lo, 0, v14, vcc_lo
	v_add_co_u32 v8, vcc_lo, v9, v8
	v_add_co_ci_u32_e32 v9, vcc_lo, 0, v10, vcc_lo
	v_add_co_u32 v4, vcc_lo, v4, v8
	v_add_co_ci_u32_e32 v11, vcc_lo, v7, v9, vcc_lo
	v_mul_hi_u32 v13, v5, v4
	v_mad_u64_u32 v[9:10], null, v6, v4, 0
	v_mad_u64_u32 v[7:8], null, v5, v11, 0
	;; [unrolled: 1-line block ×3, first 2 shown]
	v_add_co_u32 v4, vcc_lo, v13, v7
	v_add_co_ci_u32_e32 v7, vcc_lo, 0, v8, vcc_lo
	v_add_co_u32 v4, vcc_lo, v4, v9
	v_add_co_ci_u32_e32 v4, vcc_lo, v7, v10, vcc_lo
	v_add_co_ci_u32_e32 v7, vcc_lo, 0, v12, vcc_lo
	v_add_co_u32 v4, vcc_lo, v4, v11
	v_add_co_ci_u32_e32 v9, vcc_lo, 0, v7, vcc_lo
	v_mul_lo_u32 v10, s19, v4
	v_mad_u64_u32 v[7:8], null, s18, v4, 0
	v_mul_lo_u32 v11, s18, v9
	v_sub_co_u32 v7, vcc_lo, v5, v7
	v_add3_u32 v8, v8, v11, v10
	v_sub_nc_u32_e32 v10, v6, v8
	v_subrev_co_ci_u32_e64 v10, s0, s19, v10, vcc_lo
	v_add_co_u32 v11, s0, v4, 2
	v_add_co_ci_u32_e64 v12, s0, 0, v9, s0
	v_sub_co_u32 v13, s0, v7, s18
	v_sub_co_ci_u32_e32 v8, vcc_lo, v6, v8, vcc_lo
	v_subrev_co_ci_u32_e64 v10, s0, 0, v10, s0
	v_cmp_le_u32_e32 vcc_lo, s18, v13
	v_cmp_eq_u32_e64 s0, s19, v8
	v_cndmask_b32_e64 v13, 0, -1, vcc_lo
	v_cmp_le_u32_e32 vcc_lo, s19, v10
	v_cndmask_b32_e64 v14, 0, -1, vcc_lo
	v_cmp_le_u32_e32 vcc_lo, s18, v7
	;; [unrolled: 2-line block ×3, first 2 shown]
	v_cndmask_b32_e64 v15, 0, -1, vcc_lo
	v_cmp_eq_u32_e32 vcc_lo, s19, v10
	v_cndmask_b32_e64 v7, v15, v7, s0
	v_cndmask_b32_e32 v10, v14, v13, vcc_lo
	v_add_co_u32 v13, vcc_lo, v4, 1
	v_add_co_ci_u32_e32 v14, vcc_lo, 0, v9, vcc_lo
	v_cmp_ne_u32_e32 vcc_lo, 0, v10
	v_cndmask_b32_e32 v8, v14, v12, vcc_lo
	v_cndmask_b32_e32 v10, v13, v11, vcc_lo
	v_cmp_ne_u32_e32 vcc_lo, 0, v7
	v_cndmask_b32_e32 v8, v9, v8, vcc_lo
	v_cndmask_b32_e32 v7, v4, v10, vcc_lo
.LBB0_4:                                ;   in Loop: Header=BB0_2 Depth=1
	s_andn2_saveexec_b32 s0, s1
	s_cbranch_execz .LBB0_6
; %bb.5:                                ;   in Loop: Header=BB0_2 Depth=1
	v_cvt_f32_u32_e32 v4, s18
	s_sub_i32 s1, 0, s18
	v_rcp_iflag_f32_e32 v4, v4
	v_mul_f32_e32 v4, 0x4f7ffffe, v4
	v_cvt_u32_f32_e32 v4, v4
	v_mul_lo_u32 v7, s1, v4
	v_mul_hi_u32 v7, v4, v7
	v_add_nc_u32_e32 v4, v4, v7
	v_mul_hi_u32 v4, v5, v4
	v_mul_lo_u32 v7, v4, s18
	v_add_nc_u32_e32 v8, 1, v4
	v_sub_nc_u32_e32 v7, v5, v7
	v_subrev_nc_u32_e32 v9, s18, v7
	v_cmp_le_u32_e32 vcc_lo, s18, v7
	v_cndmask_b32_e32 v7, v7, v9, vcc_lo
	v_cndmask_b32_e32 v4, v4, v8, vcc_lo
	v_cmp_le_u32_e32 vcc_lo, s18, v7
	v_add_nc_u32_e32 v8, 1, v4
	v_cndmask_b32_e32 v7, v4, v8, vcc_lo
	v_mov_b32_e32 v8, v3
.LBB0_6:                                ;   in Loop: Header=BB0_2 Depth=1
	s_or_b32 exec_lo, exec_lo, s0
	s_load_dwordx2 s[0:1], s[6:7], 0x0
	v_mul_lo_u32 v4, v8, s18
	v_mul_lo_u32 v11, v7, s19
	v_mad_u64_u32 v[9:10], null, v7, s18, 0
	s_add_u32 s16, s16, 1
	s_addc_u32 s17, s17, 0
	s_add_u32 s6, s6, 8
	s_addc_u32 s7, s7, 0
	;; [unrolled: 2-line block ×3, first 2 shown]
	v_add3_u32 v4, v10, v11, v4
	v_sub_co_u32 v5, vcc_lo, v5, v9
	v_sub_co_ci_u32_e32 v4, vcc_lo, v6, v4, vcc_lo
	s_waitcnt lgkmcnt(0)
	v_mul_lo_u32 v6, s1, v5
	v_mul_lo_u32 v4, s0, v4
	v_mad_u64_u32 v[1:2], null, s0, v5, v[1:2]
	v_cmp_ge_u64_e64 s0, s[16:17], s[10:11]
	s_and_b32 vcc_lo, exec_lo, s0
	v_add3_u32 v2, v6, v2, v4
	s_cbranch_vccnz .LBB0_9
; %bb.7:                                ;   in Loop: Header=BB0_2 Depth=1
	v_mov_b32_e32 v5, v7
	v_mov_b32_e32 v6, v8
	s_branch .LBB0_2
.LBB0_8:
	v_mov_b32_e32 v8, v6
	v_mov_b32_e32 v7, v5
.LBB0_9:
	s_lshl_b64 s[0:1], s[10:11], 3
	v_mul_hi_u32 v3, 0x13b13b2, v0
	s_add_u32 s0, s12, s0
	s_addc_u32 s1, s13, s1
	s_load_dwordx2 s[0:1], s[0:1], 0x0
	s_load_dwordx2 s[4:5], s[4:5], 0x20
	v_mul_u32_u24_e32 v3, 0xd0, v3
	v_sub_nc_u32_e32 v3, v0, v3
	s_waitcnt lgkmcnt(0)
	v_mul_lo_u32 v4, s0, v8
	v_mul_lo_u32 v5, s1, v7
	v_mad_u64_u32 v[1:2], null, s0, v7, v[1:2]
	v_cmp_gt_u64_e32 vcc_lo, s[4:5], v[7:8]
	v_add3_u32 v2, v5, v2, v4
	v_mov_b32_e32 v4, 0
	v_lshlrev_b64 v[0:1], 2, v[1:2]
	v_mov_b32_e32 v2, v3
	s_and_saveexec_b32 s1, vcc_lo
	s_cbranch_execz .LBB0_13
; %bb.10:
	v_lshlrev_b64 v[7:8], 2, v[3:4]
	v_add_co_u32 v2, s0, s2, v0
	v_add_co_ci_u32_e64 v6, s0, s3, v1, s0
	v_mov_b32_e32 v5, v4
	v_add_co_u32 v7, s0, v2, v7
	v_add_co_ci_u32_e64 v8, s0, v6, v8, s0
	v_mov_b32_e32 v4, v3
	v_add_co_u32 v9, s0, 0x800, v7
	v_add_co_ci_u32_e64 v10, s0, 0, v8, s0
	v_add_co_u32 v11, s0, 0x1000, v7
	v_add_co_ci_u32_e64 v12, s0, 0, v8, s0
	s_clause 0x7
	global_load_dword v13, v[7:8], off
	global_load_dword v14, v[7:8], off offset:832
	global_load_dword v7, v[7:8], off offset:1664
	;; [unrolled: 1-line block ×7, first 2 shown]
	v_lshl_add_u32 v12, v3, 2, 0
	s_mov_b32 s4, exec_lo
	v_add_nc_u32_e32 v16, 0x600, v12
	v_add_nc_u32_e32 v17, 0xd00, v12
	v_add_nc_u32_e32 v18, 0x1300, v12
	s_waitcnt vmcnt(6)
	ds_write2_b32 v12, v13, v14 offset1:208
	s_waitcnt vmcnt(4)
	ds_write2_b32 v16, v7, v8 offset0:32 offset1:240
	s_waitcnt vmcnt(2)
	ds_write2_b32 v17, v9, v10 offset1:208
	s_waitcnt vmcnt(0)
	ds_write2_b32 v18, v15, v11 offset0:32 offset1:240
	v_cmpx_eq_u32_e32 0xcf, v3
	s_cbranch_execz .LBB0_12
; %bb.11:
	v_add_co_u32 v2, s0, 0x1800, v2
	v_add_co_ci_u32_e64 v3, s0, 0, v6, s0
	v_mov_b32_e32 v4, 0xcf
	v_mov_b32_e32 v6, 0
	;; [unrolled: 1-line block ×3, first 2 shown]
	global_load_dword v2, v[2:3], off offset:512
	v_mov_b32_e32 v3, 0xcf
	s_waitcnt vmcnt(0)
	ds_write_b32 v6, v2 offset:6656
.LBB0_12:
	s_or_b32 exec_lo, exec_lo, s4
	v_mov_b32_e32 v2, v3
	v_mov_b32_e32 v3, v4
	;; [unrolled: 1-line block ×3, first 2 shown]
.LBB0_13:
	s_or_b32 exec_lo, exec_lo, s1
	v_lshlrev_b32_e32 v5, 2, v2
	s_waitcnt lgkmcnt(0)
	s_barrier
	buffer_gl0_inv
	s_add_u32 s1, s8, 0x19cc
	v_add_nc_u32_e32 v19, 0, v5
	v_sub_nc_u32_e32 v7, 0, v5
	v_lshlrev_b64 v[5:6], 2, v[3:4]
	s_addc_u32 s4, s9, 0
	s_mov_b32 s5, exec_lo
	ds_read_u16 v10, v19
	ds_read_u16 v11, v7 offset:6656
	s_waitcnt lgkmcnt(0)
	v_add_f16_e32 v8, v11, v10
	v_sub_f16_e32 v9, v10, v11
	v_cmpx_ne_u32_e32 0, v2
	s_xor_b32 s5, exec_lo, s5
	s_cbranch_execz .LBB0_15
; %bb.14:
	v_add_co_u32 v3, s0, s1, v5
	v_add_co_ci_u32_e64 v4, s0, s4, v6, s0
	v_add_f16_e32 v9, v11, v10
	v_sub_f16_e32 v10, v10, v11
	global_load_dword v3, v[3:4], off
	ds_read_u16 v4, v7 offset:6658
	ds_read_u16 v8, v19 offset:2
	s_waitcnt lgkmcnt(0)
	v_add_f16_e32 v11, v4, v8
	v_sub_f16_e32 v4, v8, v4
	s_waitcnt vmcnt(0)
	v_lshrrev_b32_e32 v12, 16, v3
	v_fma_f16 v13, -v10, v12, v9
	v_fma_f16 v14, v11, v12, -v4
	v_fma_f16 v8, v10, v12, v9
	v_fma_f16 v9, v11, v12, v4
	v_fmac_f16_e32 v13, v3, v11
	v_fmac_f16_e32 v14, v10, v3
	v_fma_f16 v8, -v3, v11, v8
	v_fmac_f16_e32 v9, v10, v3
	v_pack_b32_f16 v4, v13, v14
	ds_write_b32 v7, v4 offset:6656
.LBB0_15:
	s_andn2_saveexec_b32 s0, s5
	s_cbranch_execz .LBB0_17
; %bb.16:
	v_mov_b32_e32 v3, 0
	ds_read_b32 v4, v3 offset:3328
	s_waitcnt lgkmcnt(0)
	v_pk_mul_f16 v4, 0xc0004000, v4
	ds_write_b32 v3, v4 offset:3328
.LBB0_17:
	s_or_b32 exec_lo, exec_lo, s0
	v_mov_b32_e32 v3, 0
	v_perm_b32 v8, v9, v8, 0x5040100
	v_lshlrev_b64 v[3:4], 2, v[2:3]
	v_add_co_u32 v10, s0, s1, v3
	v_add_co_ci_u32_e64 v11, s0, s4, v4, s0
	s_mov_b32 s1, exec_lo
	s_clause 0x1
	global_load_dword v12, v[10:11], off offset:832
	global_load_dword v13, v[10:11], off offset:1664
	v_add_co_u32 v10, s0, 0x800, v10
	v_add_co_ci_u32_e64 v11, s0, 0, v11, s0
	ds_write_b32 v19, v8
	global_load_dword v10, v[10:11], off offset:448
	ds_read_b32 v8, v19 offset:832
	ds_read_b32 v9, v7 offset:5824
	s_waitcnt lgkmcnt(0)
	v_add_f16_e32 v11, v8, v9
	v_add_f16_sdwa v14, v9, v8 dst_sel:DWORD dst_unused:UNUSED_PAD src0_sel:WORD_1 src1_sel:WORD_1
	v_sub_f16_e32 v15, v8, v9
	v_sub_f16_sdwa v8, v8, v9 dst_sel:DWORD dst_unused:UNUSED_PAD src0_sel:WORD_1 src1_sel:WORD_1
	s_waitcnt vmcnt(2)
	v_lshrrev_b32_e32 v16, 16, v12
	v_fma_f16 v9, v15, v16, v11
	v_fma_f16 v17, v14, v16, v8
	v_fma_f16 v11, -v15, v16, v11
	v_fma_f16 v8, v14, v16, -v8
	v_fma_f16 v9, -v12, v14, v9
	v_fmac_f16_e32 v17, v15, v12
	v_fmac_f16_e32 v11, v12, v14
	;; [unrolled: 1-line block ×3, first 2 shown]
	v_pack_b32_f16 v9, v9, v17
	v_pack_b32_f16 v8, v11, v8
	s_waitcnt vmcnt(1)
	v_lshrrev_b32_e32 v11, 16, v13
	ds_write_b32 v19, v9 offset:832
	ds_write_b32 v7, v8 offset:5824
	ds_read_b32 v8, v19 offset:1664
	ds_read_b32 v9, v7 offset:4992
	s_waitcnt lgkmcnt(0)
	v_add_f16_e32 v12, v8, v9
	v_add_f16_sdwa v14, v9, v8 dst_sel:DWORD dst_unused:UNUSED_PAD src0_sel:WORD_1 src1_sel:WORD_1
	v_sub_f16_e32 v15, v8, v9
	v_sub_f16_sdwa v8, v8, v9 dst_sel:DWORD dst_unused:UNUSED_PAD src0_sel:WORD_1 src1_sel:WORD_1
	v_fma_f16 v9, v15, v11, v12
	v_fma_f16 v16, v14, v11, v8
	v_fma_f16 v12, -v15, v11, v12
	v_fma_f16 v8, v14, v11, -v8
	s_waitcnt vmcnt(0)
	v_lshrrev_b32_e32 v11, 16, v10
	v_fma_f16 v9, -v13, v14, v9
	v_fmac_f16_e32 v16, v15, v13
	v_fmac_f16_e32 v12, v13, v14
	;; [unrolled: 1-line block ×3, first 2 shown]
	v_pack_b32_f16 v9, v9, v16
	v_pack_b32_f16 v8, v12, v8
	ds_write_b32 v19, v9 offset:1664
	ds_write_b32 v7, v8 offset:4992
	ds_read_b32 v8, v19 offset:2496
	ds_read_b32 v9, v7 offset:4160
	s_waitcnt lgkmcnt(0)
	v_add_f16_e32 v12, v8, v9
	v_add_f16_sdwa v13, v9, v8 dst_sel:DWORD dst_unused:UNUSED_PAD src0_sel:WORD_1 src1_sel:WORD_1
	v_sub_f16_e32 v14, v8, v9
	v_sub_f16_sdwa v8, v8, v9 dst_sel:DWORD dst_unused:UNUSED_PAD src0_sel:WORD_1 src1_sel:WORD_1
	v_fma_f16 v9, v14, v11, v12
	v_fma_f16 v15, v13, v11, v8
	v_fma_f16 v12, -v14, v11, v12
	v_fma_f16 v8, v13, v11, -v8
	v_fma_f16 v9, -v10, v13, v9
	v_fmac_f16_e32 v15, v14, v10
	v_fmac_f16_e32 v12, v10, v13
	;; [unrolled: 1-line block ×3, first 2 shown]
	v_pack_b32_f16 v9, v9, v15
	v_pack_b32_f16 v8, v12, v8
	ds_write_b32 v19, v9 offset:2496
	ds_write_b32 v7, v8 offset:4160
	s_waitcnt lgkmcnt(0)
	s_barrier
	buffer_gl0_inv
	s_barrier
	buffer_gl0_inv
	ds_read2st64_b32 v[7:8], v19 offset1:2
	ds_read2st64_b32 v[17:18], v19 offset0:4 offset1:6
	ds_read2st64_b32 v[15:16], v19 offset0:8 offset1:10
	;; [unrolled: 1-line block ×5, first 2 shown]
	ds_read_b32 v29, v19 offset:6144
	s_waitcnt lgkmcnt(0)
	s_barrier
	buffer_gl0_inv
	v_cmpx_gt_u32_e32 0x80, v2
	s_cbranch_execz .LBB0_19
; %bb.18:
	v_pk_add_f16 v20, v7, v8
	v_pk_add_f16 v23, v8, v29 neg_lo:[0,1] neg_hi:[0,1]
	v_pk_add_f16 v28, v29, v8
	v_pk_add_f16 v25, v12, v15
	;; [unrolled: 1-line block ×4, first 2 shown]
	v_pk_add_f16 v20, v15, v12 neg_lo:[0,1] neg_hi:[0,1]
	v_pk_add_f16 v21, v18, v9 neg_lo:[0,1] neg_hi:[0,1]
	v_pk_add_f16 v26, v9, v18
	v_mov_b32_e32 v31, 0x2fb7
	v_pk_add_f16 v30, v8, v18
	v_pk_add_f16 v8, v13, v14 neg_lo:[0,1] neg_hi:[0,1]
	v_pk_add_f16 v18, v14, v13
	v_pk_add_f16 v22, v17, v10 neg_lo:[0,1] neg_hi:[0,1]
	v_mov_b32_e32 v32, 0x388b
	v_pk_add_f16 v15, v30, v15
	v_mov_b32_e32 v30, 0xb9fd
	v_mul_f16_sdwa v38, v27, v31 dst_sel:DWORD dst_unused:UNUSED_PAD src0_sel:WORD_1 src1_sel:DWORD
	v_pk_add_f16 v17, v16, v11 neg_lo:[0,1] neg_hi:[0,1]
	v_pk_add_f16 v24, v11, v16
	v_pk_add_f16 v15, v15, v16
	v_mul_f16_sdwa v36, v28, v30 dst_sel:DWORD dst_unused:UNUSED_PAD src0_sel:WORD_1 src1_sel:DWORD
	v_mov_b32_e32 v33, 0xbbc4
	v_mov_b32_e32 v35, 0xb94e
	v_mul_f16_sdwa v40, v26, v32 dst_sel:DWORD dst_unused:UNUSED_PAD src0_sel:WORD_1 src1_sel:DWORD
	v_pk_add_f16 v13, v15, v13
	v_fmamk_f16 v39, v23, 0x394e, v36
	v_fmamk_f16 v41, v22, 0xbbf1, v38
	v_mov_b32_e32 v16, 0x3b15
	v_mov_b32_e32 v15, 0x3bf1
	v_pk_add_f16 v13, v13, v14
	v_add_f16_sdwa v39, v7, v39 dst_sel:DWORD dst_unused:UNUSED_PAD src0_sel:WORD_1 src1_sel:DWORD
	v_fmamk_f16 v43, v21, 0x3a95, v40
	v_mov_b32_e32 v37, 0xba95
	v_mul_f16_sdwa v42, v24, v16 dst_sel:DWORD dst_unused:UNUSED_PAD src0_sel:WORD_1 src1_sel:DWORD
	v_pk_add_f16 v11, v13, v11
	v_mul_f16_sdwa v13, v25, v33 dst_sel:DWORD dst_unused:UNUSED_PAD src0_sel:WORD_1 src1_sel:DWORD
	v_add_f16_e32 v39, v41, v39
	v_mul_f16_sdwa v41, v22, v15 dst_sel:DWORD dst_unused:UNUSED_PAD src0_sel:WORD_1 src1_sel:DWORD
	v_mov_b32_e32 v34, 0xb5ac
	v_pk_add_f16 v11, v11, v12
	v_mul_f16_sdwa v12, v23, v35 dst_sel:DWORD dst_unused:UNUSED_PAD src0_sel:WORD_1 src1_sel:DWORD
	v_fmamk_f16 v44, v20, 0xb3a8, v13
	v_add_f16_e32 v39, v43, v39
	v_mov_b32_e32 v14, 0x33a8
	v_pk_add_f16 v9, v11, v9
	v_fmamk_f16 v11, v28, 0xb9fd, v12
	v_fmamk_f16 v43, v17, 0xb770, v42
	v_fmamk_f16 v45, v27, 0x2fb7, v41
	v_add_f16_e32 v39, v44, v39
	v_pk_add_f16 v9, v9, v10
	v_add_f16_e32 v10, v7, v11
	v_mul_f16_sdwa v11, v21, v37 dst_sel:DWORD dst_unused:UNUSED_PAD src0_sel:WORD_1 src1_sel:DWORD
	v_mul_f16_sdwa v46, v20, v14 dst_sel:DWORD dst_unused:UNUSED_PAD src0_sel:WORD_1 src1_sel:DWORD
	v_add_f16_e32 v39, v43, v39
	v_pk_add_f16 v29, v9, v29
	v_add_f16_e32 v9, v45, v10
	v_fmamk_f16 v10, v26, 0x388b, v11
	v_mul_f16_sdwa v43, v28, v34 dst_sel:DWORD dst_unused:UNUSED_PAD src0_sel:WORD_1 src1_sel:DWORD
	v_mov_b32_e32 v47, 0x3770
	v_mul_f16_sdwa v44, v18, v34 dst_sel:DWORD dst_unused:UNUSED_PAD src0_sel:WORD_1 src1_sel:DWORD
	v_mul_f16_sdwa v48, v27, v30 dst_sel:DWORD dst_unused:UNUSED_PAD src0_sel:WORD_1 src1_sel:DWORD
	v_add_f16_e32 v9, v10, v9
	v_fmamk_f16 v10, v23, 0x3b7b, v43
	v_fmamk_f16 v49, v25, 0xbbc4, v46
	v_mul_f16_sdwa v50, v17, v47 dst_sel:DWORD dst_unused:UNUSED_PAD src0_sel:WORD_1 src1_sel:DWORD
	v_mov_b32_e32 v51, 0xbb7b
	v_fmamk_f16 v45, v8, 0x3b7b, v44
	v_add_f16_sdwa v10, v7, v10 dst_sel:DWORD dst_unused:UNUSED_PAD src0_sel:WORD_1 src1_sel:DWORD
	v_fmamk_f16 v52, v22, 0xb94e, v48
	v_mul_f16_sdwa v53, v26, v16 dst_sel:DWORD dst_unused:UNUSED_PAD src0_sel:WORD_1 src1_sel:DWORD
	v_add_f16_e32 v49, v49, v9
	v_fmamk_f16 v54, v24, 0x3b15, v50
	v_mul_f16_sdwa v55, v8, v51 dst_sel:DWORD dst_unused:UNUSED_PAD src0_sel:WORD_1 src1_sel:DWORD
	v_add_f16_e32 v10, v52, v10
	v_fmamk_f16 v52, v21, 0xb770, v53
	v_add_f16_e32 v9, v45, v39
	v_add_f16_e32 v39, v54, v49
	v_mul_f16_sdwa v45, v25, v31 dst_sel:DWORD dst_unused:UNUSED_PAD src0_sel:WORD_1 src1_sel:DWORD
	v_fmamk_f16 v49, v18, 0xb5ac, v55
	v_mul_f16_sdwa v54, v23, v51 dst_sel:DWORD dst_unused:UNUSED_PAD src0_sel:WORD_1 src1_sel:DWORD
	v_mov_b32_e32 v56, 0x394e
	v_add_f16_e32 v52, v52, v10
	v_fmamk_f16 v57, v20, 0x3bf1, v45
	v_mul_f16_sdwa v58, v24, v33 dst_sel:DWORD dst_unused:UNUSED_PAD src0_sel:WORD_1 src1_sel:DWORD
	v_add_f16_e32 v10, v49, v39
	v_fmamk_f16 v39, v28, 0xb5ac, v54
	v_mul_f16_sdwa v49, v22, v56 dst_sel:DWORD dst_unused:UNUSED_PAD src0_sel:WORD_1 src1_sel:DWORD
	v_mul_f16_sdwa v60, v28, v31 dst_sel:DWORD dst_unused:UNUSED_PAD src0_sel:WORD_1 src1_sel:DWORD
	v_add_f16_e32 v52, v57, v52
	v_fmamk_f16 v57, v17, 0xb3a8, v58
	v_add_f16_e32 v39, v7, v39
	v_fmamk_f16 v61, v27, 0xb9fd, v49
	v_mul_f16_sdwa v62, v21, v47 dst_sel:DWORD dst_unused:UNUSED_PAD src0_sel:WORD_1 src1_sel:DWORD
	v_mov_b32_e32 v63, 0xbbf1
	v_fmamk_f16 v64, v23, 0x3bf1, v60
	v_mul_f16_sdwa v65, v27, v33 dst_sel:DWORD dst_unused:UNUSED_PAD src0_sel:WORD_1 src1_sel:DWORD
	v_add_f16_e32 v52, v57, v52
	v_add_f16_e32 v39, v61, v39
	v_fmamk_f16 v57, v26, 0x3b15, v62
	v_add_f16_sdwa v61, v7, v64 dst_sel:DWORD dst_unused:UNUSED_PAD src0_sel:WORD_1 src1_sel:DWORD
	v_fmamk_f16 v64, v22, 0x33a8, v65
	v_mul_f16_sdwa v66, v26, v34 dst_sel:DWORD dst_unused:UNUSED_PAD src0_sel:WORD_1 src1_sel:DWORD
	v_mul_f16_sdwa v68, v20, v63 dst_sel:DWORD dst_unused:UNUSED_PAD src0_sel:WORD_1 src1_sel:DWORD
	;; [unrolled: 1-line block ×3, first 2 shown]
	v_add_f16_e32 v39, v57, v39
	v_add_f16_e32 v57, v64, v61
	v_fmamk_f16 v61, v21, 0xbb7b, v66
	v_mul_f16_sdwa v64, v25, v16 dst_sel:DWORD dst_unused:UNUSED_PAD src0_sel:WORD_1 src1_sel:DWORD
	v_fmamk_f16 v69, v25, 0x2fb7, v68
	v_mul_f16_sdwa v14, v17, v14 dst_sel:DWORD dst_unused:UNUSED_PAD src0_sel:WORD_1 src1_sel:DWORD
	v_fmac_f16_e32 v36, 0xb94e, v23
	v_fmamk_f16 v67, v8, 0xba95, v59
	v_mov_b32_e32 v70, 0x3a95
	v_add_f16_e32 v57, v61, v57
	v_fmamk_f16 v61, v20, 0xb770, v64
	v_mul_f16_sdwa v71, v24, v32 dst_sel:DWORD dst_unused:UNUSED_PAD src0_sel:WORD_1 src1_sel:DWORD
	v_add_f16_e32 v39, v69, v39
	v_fmamk_f16 v69, v24, 0xbbc4, v14
	v_mul_f16_sdwa v63, v23, v63 dst_sel:DWORD dst_unused:UNUSED_PAD src0_sel:WORD_1 src1_sel:DWORD
	v_mov_b32_e32 v72, 0xb3a8
	v_add_f16_sdwa v36, v7, v36 dst_sel:DWORD dst_unused:UNUSED_PAD src0_sel:WORD_1 src1_sel:DWORD
	v_fmac_f16_e32 v38, 0x3bf1, v22
	v_mul_f16_sdwa v70, v8, v70 dst_sel:DWORD dst_unused:UNUSED_PAD src0_sel:WORD_1 src1_sel:DWORD
	v_add_f16_e32 v57, v61, v57
	v_fmamk_f16 v61, v17, 0x3a95, v71
	v_add_f16_e32 v52, v67, v52
	v_add_f16_e32 v39, v69, v39
	v_fmamk_f16 v67, v28, 0x2fb7, v63
	v_mul_f16_sdwa v69, v22, v72 dst_sel:DWORD dst_unused:UNUSED_PAD src0_sel:WORD_1 src1_sel:DWORD
	v_mov_b32_e32 v74, 0x3b7b
	v_add_f16_e32 v36, v38, v36
	v_fmac_f16_e32 v40, 0xba95, v21
	v_fma_f16 v12, v28, 0xb9fd, -v12
	v_mul_f16_sdwa v73, v18, v30 dst_sel:DWORD dst_unused:UNUSED_PAD src0_sel:WORD_1 src1_sel:DWORD
	v_fmamk_f16 v75, v18, 0x388b, v70
	v_add_f16_e32 v57, v61, v57
	v_add_f16_e32 v61, v7, v67
	v_fmamk_f16 v67, v27, 0xbbc4, v69
	v_mul_f16_sdwa v74, v21, v74 dst_sel:DWORD dst_unused:UNUSED_PAD src0_sel:WORD_1 src1_sel:DWORD
	v_add_f16_e32 v36, v40, v36
	v_fmac_f16_e32 v13, 0x33a8, v20
	v_add_f16_e32 v12, v7, v12
	v_fma_f16 v40, v27, 0x2fb7, -v41
	v_fmamk_f16 v76, v8, 0x394e, v73
	v_add_f16_e32 v39, v75, v39
	v_mul_f16_sdwa v32, v28, v32 dst_sel:DWORD dst_unused:UNUSED_PAD src0_sel:WORD_1 src1_sel:DWORD
	v_add_f16_e32 v61, v67, v61
	v_fmamk_f16 v67, v26, 0xb5ac, v74
	v_mul_f16_sdwa v75, v20, v47 dst_sel:DWORD dst_unused:UNUSED_PAD src0_sel:WORD_1 src1_sel:DWORD
	v_add_f16_e32 v13, v13, v36
	v_fmac_f16_e32 v42, 0x3770, v17
	v_add_f16_e32 v12, v40, v12
	v_fma_f16 v11, v26, 0x388b, -v11
	v_fmac_f16_e32 v43, 0xbb7b, v23
	v_add_f16_e32 v57, v76, v57
	v_fmamk_f16 v76, v23, 0x3a95, v32
	v_mul_f16_sdwa v34, v27, v34 dst_sel:DWORD dst_unused:UNUSED_PAD src0_sel:WORD_1 src1_sel:DWORD
	v_add_f16_e32 v61, v67, v61
	v_fmamk_f16 v67, v25, 0x3b15, v75
	v_mul_f16_sdwa v77, v17, v37 dst_sel:DWORD dst_unused:UNUSED_PAD src0_sel:WORD_1 src1_sel:DWORD
	v_add_f16_e32 v13, v42, v13
	v_add_f16_e32 v11, v11, v12
	v_fma_f16 v12, v25, 0xbbc4, -v46
	v_add_f16_sdwa v40, v7, v43 dst_sel:DWORD dst_unused:UNUSED_PAD src0_sel:WORD_1 src1_sel:DWORD
	v_fmac_f16_e32 v48, 0x394e, v22
	v_fma_f16 v42, v28, 0xb5ac, -v54
	v_add_f16_sdwa v76, v7, v76 dst_sel:DWORD dst_unused:UNUSED_PAD src0_sel:WORD_1 src1_sel:DWORD
	v_fmamk_f16 v78, v22, 0x3b7b, v34
	v_mul_f16_sdwa v33, v26, v33 dst_sel:DWORD dst_unused:UNUSED_PAD src0_sel:WORD_1 src1_sel:DWORD
	v_add_f16_e32 v61, v67, v61
	v_fmamk_f16 v67, v24, 0x388b, v77
	v_mul_f16_sdwa v35, v8, v35 dst_sel:DWORD dst_unused:UNUSED_PAD src0_sel:WORD_1 src1_sel:DWORD
	v_add_f16_e32 v11, v12, v11
	v_add_f16_e32 v12, v48, v40
	;; [unrolled: 1-line block ×3, first 2 shown]
	v_fma_f16 v42, v27, 0xb9fd, -v49
	v_add_f16_e32 v76, v78, v76
	v_fmamk_f16 v78, v21, 0x33a8, v33
	v_mul_f16_sdwa v30, v25, v30 dst_sel:DWORD dst_unused:UNUSED_PAD src0_sel:WORD_1 src1_sel:DWORD
	v_add_f16_e32 v61, v67, v61
	v_fmamk_f16 v67, v18, 0xb9fd, v35
	v_mul_f16_sdwa v37, v23, v37 dst_sel:DWORD dst_unused:UNUSED_PAD src0_sel:WORD_1 src1_sel:DWORD
	v_fmac_f16_e32 v44, 0xbb7b, v8
	v_fmac_f16_e32 v60, 0xbbf1, v23
	v_add_f16_e32 v40, v42, v40
	v_fma_f16 v42, v26, 0x3b15, -v62
	v_add_f16_e32 v76, v78, v76
	v_fmamk_f16 v78, v20, 0xb94e, v30
	v_mul_f16_sdwa v31, v24, v31 dst_sel:DWORD dst_unused:UNUSED_PAD src0_sel:WORD_1 src1_sel:DWORD
	v_add_f16_e32 v61, v67, v61
	v_fmamk_f16 v67, v28, 0x388b, v37
	v_mul_f16_sdwa v51, v22, v51 dst_sel:DWORD dst_unused:UNUSED_PAD src0_sel:WORD_1 src1_sel:DWORD
	v_add_f16_e32 v13, v44, v13
	v_fma_f16 v43, v24, 0x3b15, -v50
	v_add_f16_sdwa v44, v7, v60 dst_sel:DWORD dst_unused:UNUSED_PAD src0_sel:WORD_1 src1_sel:DWORD
	v_fmac_f16_e32 v65, 0xb3a8, v22
	v_add_f16_e32 v40, v42, v40
	v_fma_f16 v42, v25, 0x2fb7, -v68
	v_add_f16_e32 v76, v78, v76
	v_fmamk_f16 v78, v17, 0xbbf1, v31
	v_mul_f16_sdwa v16, v18, v16 dst_sel:DWORD dst_unused:UNUSED_PAD src0_sel:WORD_1 src1_sel:DWORD
	v_add_f16_e32 v67, v7, v67
	v_fmamk_f16 v79, v27, 0xb5ac, v51
	v_mul_f16_sdwa v72, v21, v72 dst_sel:DWORD dst_unused:UNUSED_PAD src0_sel:WORD_1 src1_sel:DWORD
	v_pk_mul_f16 v80, 0xb770, v23 op_sel_hi:[0,1]
	v_add_f16_e32 v44, v65, v44
	v_fmac_f16_e32 v66, 0x3b7b, v21
	v_add_f16_e32 v11, v43, v11
	v_add_f16_e32 v40, v42, v40
	v_fma_f16 v42, v18, 0xb5ac, -v55
	v_add_f16_e32 v76, v78, v76
	v_fmamk_f16 v78, v8, 0xb770, v16
	v_add_f16_e32 v67, v79, v67
	v_fmamk_f16 v79, v26, 0xbbc4, v72
	v_pk_fma_f16 v81, 0x3b15, v28, v80 op_sel:[0,0,1] op_sel_hi:[0,1,0]
	v_pk_mul_f16 v82, 0xba95, v22 op_sel_hi:[0,1]
	v_pk_fma_f16 v80, 0x3b15, v28, v80 op_sel:[0,0,1] op_sel_hi:[0,1,0] neg_lo:[0,0,1] neg_hi:[0,0,1]
	v_add_f16_e32 v43, v66, v44
	v_fma_f16 v14, v24, 0xbbc4, -v14
	v_fmac_f16_e32 v64, 0x3770, v20
	v_add_f16_e32 v11, v42, v11
	v_fma_f16 v42, v28, 0x2fb7, -v63
	v_add_f16_e32 v76, v78, v76
	v_add_f16_e32 v67, v79, v67
	v_pk_fma_f16 v78, 0x388b, v27, v82 op_sel:[0,0,1] op_sel_hi:[0,1,0]
	v_bfi_b32 v79, 0xffff, v81, v80
	v_pk_fma_f16 v82, 0x388b, v27, v82 op_sel:[0,0,1] op_sel_hi:[0,1,0] neg_lo:[0,0,1] neg_hi:[0,0,1]
	v_pk_mul_f16 v83, 0xbbf1, v21 op_sel_hi:[0,1]
	v_add_f16_e32 v14, v14, v40
	v_add_f16_e32 v40, v64, v43
	;; [unrolled: 1-line block ×3, first 2 shown]
	v_fma_f16 v43, v27, 0xbbc4, -v69
	v_fmac_f16_e32 v32, 0xba95, v23
	v_mul_f16_sdwa v56, v20, v56 dst_sel:DWORD dst_unused:UNUSED_PAD src0_sel:WORD_1 src1_sel:DWORD
	v_pk_add_f16 v79, v7, v79
	v_bfi_b32 v85, 0xffff, v78, v82
	v_pk_fma_f16 v86, 0x2fb7, v26, v83 op_sel:[0,0,1] op_sel_hi:[0,1,0]
	v_pk_fma_f16 v83, 0x2fb7, v26, v83 op_sel:[0,0,1] op_sel_hi:[0,1,0] neg_lo:[0,0,1] neg_hi:[0,0,1]
	v_pk_mul_f16 v87, 0xbb7b, v20 op_sel_hi:[0,1]
	v_add_f16_e32 v42, v43, v42
	v_fma_f16 v43, v26, 0xb5ac, -v74
	v_add_f16_sdwa v32, v7, v32 dst_sel:DWORD dst_unused:UNUSED_PAD src0_sel:WORD_1 src1_sel:DWORD
	v_fmac_f16_e32 v34, 0xbb7b, v22
	v_fmamk_f16 v84, v25, 0xb9fd, v56
	v_mul_f16_sdwa v15, v17, v15 dst_sel:DWORD dst_unused:UNUSED_PAD src0_sel:WORD_1 src1_sel:DWORD
	v_pk_add_f16 v79, v85, v79
	v_bfi_b32 v85, 0xffff, v86, v83
	v_pk_fma_f16 v88, 0xb5ac, v25, v87 op_sel:[0,0,1] op_sel_hi:[0,1,0]
	v_pk_fma_f16 v87, 0xb5ac, v25, v87 op_sel:[0,0,1] op_sel_hi:[0,1,0] neg_lo:[0,0,1] neg_hi:[0,0,1]
	v_pk_mul_f16 v89, 0xb94e, v17 op_sel_hi:[0,1]
	v_fma_f16 v44, v18, 0x388b, -v70
	v_add_f16_e32 v42, v43, v42
	v_fma_f16 v43, v25, 0x3b15, -v75
	v_add_f16_e32 v32, v34, v32
	v_fma_f16 v34, v28, 0x388b, -v37
	v_fmac_f16_e32 v33, 0xb3a8, v21
	v_add_f16_e32 v67, v84, v67
	v_fmamk_f16 v84, v24, 0x2fb7, v15
	v_mul_f16_sdwa v47, v8, v47 dst_sel:DWORD dst_unused:UNUSED_PAD src0_sel:WORD_1 src1_sel:DWORD
	v_pk_add_f16 v79, v85, v79
	v_bfi_b32 v85, 0xffff, v88, v87
	v_pk_fma_f16 v90, 0xb9fd, v24, v89 op_sel:[0,0,1] op_sel_hi:[0,1,0]
	v_pk_fma_f16 v89, 0xb9fd, v24, v89 op_sel:[0,0,1] op_sel_hi:[0,1,0] neg_lo:[0,0,1] neg_hi:[0,0,1]
	v_add_f16_e32 v14, v44, v14
	v_add_f16_e32 v42, v43, v42
	v_fma_f16 v43, v24, 0x388b, -v77
	v_add_f16_e32 v34, v7, v34
	v_fma_f16 v44, v27, 0xb5ac, -v51
	v_add_f16_e32 v32, v33, v32
	v_fmac_f16_e32 v30, 0x394e, v20
	v_add_f16_e32 v67, v84, v67
	v_fmamk_f16 v84, v18, 0x3b15, v47
	v_pk_add_f16 v79, v85, v79
	v_bfi_b32 v85, 0xffff, v90, v89
	v_add_f16_e32 v33, v43, v42
	v_fma_f16 v35, v18, 0xb9fd, -v35
	v_add_f16_e32 v34, v44, v34
	v_fma_f16 v42, v26, 0xbbc4, -v72
	v_add_f16_e32 v30, v30, v32
	v_fmac_f16_e32 v31, 0x3bf1, v17
	v_pk_mul_f16 v28, 0xbbc4, v28 op_sel_hi:[0,1]
	v_add_f16_e32 v38, v84, v67
	v_pk_add_f16 v67, v85, v79
	v_pk_mul_f16 v79, 0xb3a8, v8 op_sel_hi:[0,1]
	v_add_f16_e32 v32, v35, v33
	v_add_f16_e32 v33, v42, v34
	v_fma_f16 v34, v25, 0xb9fd, -v56
	v_add_f16_e32 v30, v31, v30
	v_pk_fma_f16 v31, 0xb3a8, v23, v28 op_sel:[0,0,1] op_sel_hi:[0,1,0]
	v_alignbit_b32 v35, s0, v7, 16
	v_pk_mul_f16 v27, 0x3b15, v27 op_sel_hi:[0,1]
	v_pk_fma_f16 v41, 0xbbc4, v18, v79 op_sel:[0,0,1] op_sel_hi:[0,1,0]
	v_pk_fma_f16 v79, 0xbbc4, v18, v79 op_sel:[0,0,1] op_sel_hi:[0,1,0] neg_lo:[0,0,1] neg_hi:[0,0,1]
	v_add_f16_e32 v33, v34, v33
	v_fma_f16 v15, v24, 0x2fb7, -v15
	v_fmac_f16_e32 v16, 0x3770, v8
	v_pk_add_f16 v34, v35, v31
	v_pk_fma_f16 v35, 0x3770, v22, v27 op_sel:[0,0,1] op_sel_hi:[0,1,0]
	v_pk_mul_f16 v26, 0xb9fd, v26 op_sel_hi:[0,1]
	v_pk_fma_f16 v23, 0xb3a8, v23, v28 op_sel:[0,0,1] op_sel_hi:[0,1,0] neg_lo:[0,1,0] neg_hi:[0,1,0]
	v_alignbit_b32 v31, s0, v31, 16
	v_bfi_b32 v36, 0xffff, v41, v79
	v_add_f16_e32 v15, v15, v33
	v_fma_f16 v33, v18, 0x3b15, -v47
	v_add_f16_e32 v16, v16, v30
	v_pk_add_f16 v30, v35, v34
	v_pk_fma_f16 v34, 0xb94e, v21, v26 op_sel:[0,0,1] op_sel_hi:[0,1,0]
	v_pk_mul_f16 v25, 0x388b, v25 op_sel_hi:[0,1]
	v_pk_add_f16 v23, v7, v23 op_sel:[1,0] op_sel_hi:[0,1]
	v_pk_fma_f16 v22, 0x3770, v22, v27 op_sel:[0,0,1] op_sel_hi:[0,1,0] neg_lo:[0,1,0] neg_hi:[0,1,0]
	v_pk_add_f16 v27, v7, v31
	v_alignbit_b32 v31, s0, v35, 16
	v_pk_add_f16 v36, v36, v67
	v_fmac_f16_e32 v53, 0x3770, v21
	v_mad_u32_u24 v37, v2, 48, v19
	v_add_f16_e32 v15, v33, v15
	v_pk_fma_f16 v33, 0x3a95, v20, v25 op_sel:[0,0,1] op_sel_hi:[0,1,0]
	v_pk_mul_f16 v24, 0xb5ac, v24 op_sel_hi:[0,1]
	v_pk_add_f16 v22, v22, v23
	v_pk_fma_f16 v21, 0xb94e, v21, v26 op_sel:[0,0,1] op_sel_hi:[0,1,0] neg_lo:[0,1,0] neg_hi:[0,1,0]
	v_pk_add_f16 v23, v31, v27
	v_alignbit_b32 v26, s0, v34, 16
	v_bfi_b32 v31, 0xffff, v80, v81
	v_fmac_f16_e32 v45, 0xbbf1, v20
	ds_write2_b32 v37, v29, v36 offset1:1
	v_pk_add_f16 v30, v34, v30
	v_pk_fma_f16 v36, 0xbb7b, v17, v24 op_sel:[0,0,1] op_sel_hi:[0,1,0]
	v_pk_mul_f16 v18, 0x2fb7, v18 op_sel_hi:[0,1]
	v_pk_add_f16 v21, v21, v22
	v_pk_fma_f16 v20, 0x3a95, v20, v25 op_sel:[0,0,1] op_sel_hi:[0,1,0] neg_lo:[0,1,0] neg_hi:[0,1,0]
	v_pk_add_f16 v22, v26, v23
	v_alignbit_b32 v23, s0, v33, 16
	v_pk_add_f16 v7, v7, v31
	v_bfi_b32 v25, 0xffff, v82, v78
	v_add_f16_e32 v12, v53, v12
	v_fmac_f16_e32 v58, 0x33a8, v17
	v_fmac_f16_e32 v71, 0xba95, v17
	v_pk_add_f16 v30, v33, v30
	v_pk_fma_f16 v27, 0x3bf1, v8, v18 op_sel:[0,0,1] op_sel_hi:[0,1,0]
	v_pk_add_f16 v20, v20, v21
	v_pk_fma_f16 v17, 0xbb7b, v17, v24 op_sel:[0,0,1] op_sel_hi:[0,1,0] neg_lo:[0,1,0] neg_hi:[0,1,0]
	v_pk_add_f16 v21, v23, v22
	v_alignbit_b32 v22, s0, v36, 16
	v_pk_add_f16 v7, v25, v7
	v_bfi_b32 v23, 0xffff, v83, v86
	v_add_f16_e32 v12, v45, v12
	v_fmac_f16_e32 v59, 0x3a95, v8
	v_fmac_f16_e32 v73, 0xb94e, v8
	v_pk_add_f16 v30, v36, v30
	v_pk_add_f16 v17, v17, v20
	v_pk_fma_f16 v8, 0x3bf1, v8, v18 op_sel:[0,0,1] op_sel_hi:[0,1,0] neg_lo:[0,1,0] neg_hi:[0,1,0]
	v_pk_add_f16 v18, v22, v21
	v_alignbit_b32 v20, s0, v27, 16
	v_pk_add_f16 v7, v23, v7
	v_bfi_b32 v21, 0xffff, v87, v88
	v_add_f16_e32 v12, v58, v12
	v_add_f16_e32 v40, v71, v40
	v_pk_add_f16 v22, v27, v30
	v_pk_add_f16 v8, v8, v17
	;; [unrolled: 1-line block ×4, first 2 shown]
	v_bfi_b32 v18, 0xffff, v89, v90
	v_add_f16_e32 v12, v59, v12
	v_add_f16_e32 v40, v73, v40
	v_alignbit_b32 v20, v22, v8, 16
	v_pack_b32_f16 v8, v17, v8
	v_pk_add_f16 v7, v18, v7
	v_bfi_b32 v17, 0xffff, v79, v41
	v_pack_b32_f16 v29, v61, v57
	v_pack_b32_f16 v28, v38, v76
	;; [unrolled: 1-line block ×8, first 2 shown]
	v_pk_add_f16 v7, v17, v7
	ds_write2_b32 v37, v28, v29 offset0:2 offset1:3
	ds_write2_b32 v37, v10, v9 offset0:4 offset1:5
	;; [unrolled: 1-line block ×5, first 2 shown]
	ds_write_b32 v37, v7 offset:48
.LBB0_19:
	s_or_b32 exec_lo, exec_lo, s1
	v_add_nc_u32_e32 v18, 0x270, v2
	v_mov_b32_e32 v7, 0x4ec5
	v_add_nc_u32_e32 v24, 0x1a0, v2
	v_add_nc_u32_e32 v20, 0xd0, v2
	v_and_b32_e32 v8, 0xff, v2
	v_mov_b32_e32 v30, 2
	v_mul_u32_u24_sdwa v21, v18, v7 dst_sel:DWORD dst_unused:UNUSED_PAD src0_sel:WORD_0 src1_sel:DWORD
	v_mul_u32_u24_sdwa v22, v24, v7 dst_sel:DWORD dst_unused:UNUSED_PAD src0_sel:WORD_0 src1_sel:DWORD
	;; [unrolled: 1-line block ×3, first 2 shown]
	v_mul_lo_u16 v25, 0x4f, v8
	s_waitcnt lgkmcnt(0)
	v_lshrrev_b32_e32 v26, 18, v21
	v_lshrrev_b32_e32 v27, 18, v22
	;; [unrolled: 1-line block ×3, first 2 shown]
	v_lshrrev_b16 v29, 10, v25
	s_barrier
	v_mul_lo_u16 v7, v26, 13
	v_mul_lo_u16 v8, v27, 13
	;; [unrolled: 1-line block ×4, first 2 shown]
	buffer_gl0_inv
	v_sub_nc_u16 v7, v18, v7
	v_sub_nc_u16 v8, v24, v8
	;; [unrolled: 1-line block ×4, first 2 shown]
	v_mov_b32_e32 v39, 0x68
	v_lshlrev_b32_sdwa v31, v30, v7 dst_sel:DWORD dst_unused:UNUSED_PAD src0_sel:DWORD src1_sel:WORD_0
	v_lshlrev_b32_sdwa v32, v30, v8 dst_sel:DWORD dst_unused:UNUSED_PAD src0_sel:DWORD src1_sel:WORD_0
	;; [unrolled: 1-line block ×3, first 2 shown]
	v_lshlrev_b32_sdwa v34, v30, v10 dst_sel:DWORD dst_unused:UNUSED_PAD src0_sel:DWORD src1_sel:BYTE_0
	s_clause 0x3
	global_load_dword v35, v31, s[8:9]
	global_load_dword v36, v32, s[8:9]
	;; [unrolled: 1-line block ×4, first 2 shown]
	v_add_nc_u32_e32 v8, 0xd00, v19
	v_add_nc_u32_e32 v7, 0x600, v19
	;; [unrolled: 1-line block ×3, first 2 shown]
	ds_read2_b32 v[10:11], v19 offset1:208
	ds_read2_b32 v[12:13], v8 offset1:208
	ds_read2_b32 v[14:15], v7 offset0:32 offset1:240
	ds_read2_b32 v[16:17], v9 offset0:32 offset1:240
	v_mul_u32_u24_sdwa v29, v29, v39 dst_sel:DWORD dst_unused:UNUSED_PAD src0_sel:WORD_0 src1_sel:DWORD
	v_mul_u32_u24_e32 v28, 0x68, v28
	v_mul_u32_u24_e32 v27, 0x68, v27
	v_lshrrev_b32_e32 v43, 19, v21
	v_lshrrev_b32_e32 v42, 19, v22
	v_add3_u32 v29, 0, v29, v34
	v_add3_u32 v28, 0, v28, v33
	v_lshrrev_b32_e32 v41, 19, v23
	v_lshrrev_b16 v40, 11, v25
	v_add3_u32 v27, 0, v27, v32
	v_mul_lo_u16 v46, v43, 26
	v_mul_lo_u16 v45, v42, 26
	;; [unrolled: 1-line block ×4, first 2 shown]
	v_mul_u32_u24_e32 v26, 0x68, v26
	v_sub_nc_u16 v46, v18, v46
	v_sub_nc_u16 v45, v24, v45
	;; [unrolled: 1-line block ×4, first 2 shown]
	v_add3_u32 v26, 0, v26, v31
	v_lshlrev_b32_sdwa v46, v30, v46 dst_sel:DWORD dst_unused:UNUSED_PAD src0_sel:DWORD src1_sel:WORD_0
	v_lshlrev_b32_sdwa v45, v30, v45 dst_sel:DWORD dst_unused:UNUSED_PAD src0_sel:DWORD src1_sel:WORD_0
	;; [unrolled: 1-line block ×3, first 2 shown]
	v_lshlrev_b32_sdwa v39, v30, v39 dst_sel:DWORD dst_unused:UNUSED_PAD src0_sel:DWORD src1_sel:BYTE_0
	s_waitcnt vmcnt(0) lgkmcnt(0)
	s_barrier
	buffer_gl0_inv
	v_lshrrev_b16 v25, 12, v25
	v_lshrrev_b32_e32 v31, 20, v23
	v_add_co_u32 v5, s0, s8, v5
	v_add_co_ci_u32_e64 v6, s0, s9, v6, s0
	v_pk_mul_f16 v33, v35, v17 op_sel:[0,1]
	v_pk_mul_f16 v34, v36, v16 op_sel:[0,1]
	;; [unrolled: 1-line block ×4, first 2 shown]
	v_pk_fma_f16 v32, v35, v17, v33 op_sel:[0,0,1] op_sel_hi:[1,1,0]
	v_pk_fma_f16 v49, v36, v16, v34 op_sel:[0,0,1] op_sel_hi:[1,1,0]
	;; [unrolled: 1-line block ×4, first 2 shown]
	v_pk_fma_f16 v12, v38, v12, v48 op_sel:[0,0,1] op_sel_hi:[1,0,0] neg_lo:[1,0,0] neg_hi:[1,0,0]
	v_pk_fma_f16 v13, v37, v13, v47 op_sel:[0,0,1] op_sel_hi:[1,0,0] neg_lo:[1,0,0] neg_hi:[1,0,0]
	;; [unrolled: 1-line block ×4, first 2 shown]
	v_bfi_b32 v12, 0xffff, v51, v12
	v_bfi_b32 v13, 0xffff, v50, v13
	;; [unrolled: 1-line block ×4, first 2 shown]
	v_pk_add_f16 v12, v10, v12 neg_lo:[0,1] neg_hi:[0,1]
	v_pk_add_f16 v13, v11, v13 neg_lo:[0,1] neg_hi:[0,1]
	;; [unrolled: 1-line block ×4, first 2 shown]
	v_pk_fma_f16 v10, v10, 2.0, v12 op_sel_hi:[1,0,1] neg_lo:[0,0,1] neg_hi:[0,0,1]
	v_pk_fma_f16 v11, v11, 2.0, v13 op_sel_hi:[1,0,1] neg_lo:[0,0,1] neg_hi:[0,0,1]
	;; [unrolled: 1-line block ×4, first 2 shown]
	ds_write2_b32 v29, v10, v12 offset1:13
	ds_write2_b32 v28, v11, v13 offset1:13
	;; [unrolled: 1-line block ×4, first 2 shown]
	s_waitcnt lgkmcnt(0)
	s_barrier
	buffer_gl0_inv
	s_clause 0x3
	global_load_dword v26, v46, s[8:9] offset:52
	global_load_dword v27, v45, s[8:9] offset:52
	;; [unrolled: 1-line block ×4, first 2 shown]
	ds_read2_b32 v[12:13], v8 offset1:208
	ds_read2_b32 v[10:11], v9 offset0:32 offset1:240
	v_mov_b32_e32 v14, 0xd0
	v_mul_lo_u16 v15, v25, 52
	v_mul_lo_u16 v16, v31, 52
	v_mov_b32_e32 v17, 3
	v_mul_u32_u24_sdwa v14, v40, v14 dst_sel:DWORD dst_unused:UNUSED_PAD src0_sel:WORD_0 src1_sel:DWORD
	v_sub_nc_u16 v32, v2, v15
	v_sub_nc_u16 v33, v20, v16
	v_mul_u32_u24_e32 v15, 0xd0, v41
	v_mul_u32_u24_e32 v16, 0xd0, v42
	v_add3_u32 v35, 0, v14, v39
	v_mul_u32_u24_sdwa v23, v32, v17 dst_sel:DWORD dst_unused:UNUSED_PAD src0_sel:BYTE_0 src1_sel:DWORD
	v_mul_u32_u24_sdwa v34, v33, v17 dst_sel:DWORD dst_unused:UNUSED_PAD src0_sel:WORD_0 src1_sel:DWORD
	v_add3_u32 v36, 0, v15, v44
	v_add3_u32 v37, 0, v16, v45
	ds_read2_b32 v[14:15], v19 offset1:208
	ds_read2_b32 v[16:17], v7 offset0:32 offset1:240
	v_mul_u32_u24_e32 v20, 0xd0, v43
	v_lshlrev_b32_e32 v23, 2, v23
	s_waitcnt vmcnt(0) lgkmcnt(0)
	s_barrier
	buffer_gl0_inv
	v_add3_u32 v20, 0, v20, v46
	v_pk_mul_f16 v38, v26, v11 op_sel:[0,1]
	v_pk_mul_f16 v39, v27, v10 op_sel:[0,1]
	;; [unrolled: 1-line block ×4, first 2 shown]
	v_pk_fma_f16 v42, v26, v11, v38 op_sel:[0,0,1] op_sel_hi:[1,1,0]
	v_pk_fma_f16 v43, v27, v10, v39 op_sel:[0,0,1] op_sel_hi:[1,1,0]
	;; [unrolled: 1-line block ×4, first 2 shown]
	v_pk_fma_f16 v12, v29, v12, v41 op_sel:[0,0,1] op_sel_hi:[1,0,0] neg_lo:[1,0,0] neg_hi:[1,0,0]
	v_pk_fma_f16 v13, v28, v13, v40 op_sel:[0,0,1] op_sel_hi:[1,0,0] neg_lo:[1,0,0] neg_hi:[1,0,0]
	;; [unrolled: 1-line block ×4, first 2 shown]
	v_mul_u32_u24_e32 v28, 0x340, v31
	v_bfi_b32 v12, 0xffff, v45, v12
	v_bfi_b32 v13, 0xffff, v44, v13
	;; [unrolled: 1-line block ×4, first 2 shown]
	v_lshlrev_b32_sdwa v31, v30, v33 dst_sel:DWORD dst_unused:UNUSED_PAD src0_sel:DWORD src1_sel:WORD_0
	v_pk_add_f16 v12, v14, v12 neg_lo:[0,1] neg_hi:[0,1]
	v_pk_add_f16 v13, v15, v13 neg_lo:[0,1] neg_hi:[0,1]
	;; [unrolled: 1-line block ×4, first 2 shown]
	v_pk_fma_f16 v14, v14, 2.0, v12 op_sel_hi:[1,0,1] neg_lo:[0,0,1] neg_hi:[0,0,1]
	v_pk_fma_f16 v15, v15, 2.0, v13 op_sel_hi:[1,0,1] neg_lo:[0,0,1] neg_hi:[0,0,1]
	;; [unrolled: 1-line block ×4, first 2 shown]
	ds_write2_b32 v35, v14, v12 offset1:26
	ds_write2_b32 v36, v15, v13 offset1:26
	;; [unrolled: 1-line block ×4, first 2 shown]
	v_lshlrev_b32_e32 v13, 2, v34
	s_waitcnt lgkmcnt(0)
	s_barrier
	buffer_gl0_inv
	s_clause 0x1
	global_load_dwordx3 v[10:12], v23, s[8:9] offset:156
	global_load_dwordx3 v[13:15], v13, s[8:9] offset:156
	v_lshrrev_b32_e32 v20, 22, v21
	v_mov_b32_e32 v16, 0x340
	v_lshrrev_b32_e32 v17, 22, v22
	v_mul_lo_u16 v27, 0xd0, v20
	v_mul_u32_u24_sdwa v26, v25, v16 dst_sel:DWORD dst_unused:UNUSED_PAD src0_sel:WORD_0 src1_sel:DWORD
	v_mul_lo_u16 v25, 0xd0, v17
	ds_read2_b32 v[16:17], v7 offset0:32 offset1:240
	ds_read2_b32 v[20:21], v8 offset1:208
	ds_read2_b32 v[22:23], v9 offset0:32 offset1:240
	v_sub_nc_u16 v18, v18, v27
	v_lshlrev_b32_sdwa v27, v30, v32 dst_sel:DWORD dst_unused:UNUSED_PAD src0_sel:DWORD src1_sel:BYTE_0
	v_sub_nc_u16 v29, v24, v25
	ds_read2_b32 v[24:25], v19 offset1:208
	v_lshlrev_b32_sdwa v18, v30, v18 dst_sel:DWORD dst_unused:UNUSED_PAD src0_sel:DWORD src1_sel:WORD_0
	v_add3_u32 v26, 0, v26, v27
	v_add3_u32 v27, 0, v28, v31
	ds_read_u16 v28, v19 offset:5826
	v_lshlrev_b32_sdwa v29, v30, v29 dst_sel:DWORD dst_unused:UNUSED_PAD src0_sel:DWORD src1_sel:WORD_0
	s_waitcnt vmcnt(0) lgkmcnt(0)
	s_barrier
	buffer_gl0_inv
	v_lshrrev_b32_e32 v30, 16, v16
	v_lshrrev_b32_e32 v31, 16, v20
	;; [unrolled: 1-line block ×7, first 2 shown]
	v_mul_f16_sdwa v37, v10, v30 dst_sel:DWORD dst_unused:UNUSED_PAD src0_sel:WORD_1 src1_sel:DWORD
	v_mul_f16_sdwa v38, v10, v16 dst_sel:DWORD dst_unused:UNUSED_PAD src0_sel:WORD_1 src1_sel:DWORD
	;; [unrolled: 1-line block ×10, first 2 shown]
	v_mul_f16_sdwa v47, v28, v15 dst_sel:DWORD dst_unused:UNUSED_PAD src0_sel:DWORD src1_sel:WORD_1
	v_mul_f16_sdwa v48, v15, v23 dst_sel:DWORD dst_unused:UNUSED_PAD src0_sel:WORD_1 src1_sel:DWORD
	v_fmac_f16_e32 v37, v10, v16
	v_fma_f16 v10, v10, v30, -v38
	v_fmac_f16_e32 v39, v11, v20
	v_fma_f16 v11, v11, v31, -v40
	;; [unrolled: 2-line block ×6, first 2 shown]
	v_sub_f16_e32 v16, v24, v39
	v_sub_f16_e32 v11, v35, v11
	;; [unrolled: 1-line block ×8, first 2 shown]
	v_fma_f16 v22, v24, 2.0, -v16
	v_fma_f16 v23, v35, 2.0, -v11
	;; [unrolled: 1-line block ×8, first 2 shown]
	v_add_f16_e32 v12, v16, v12
	v_sub_f16_e32 v17, v11, v17
	v_add_f16_e32 v15, v20, v15
	v_sub_f16_e32 v21, v14, v21
	v_sub_f16_e32 v24, v22, v24
	;; [unrolled: 1-line block ×5, first 2 shown]
	v_fma_f16 v16, v16, 2.0, -v12
	v_fma_f16 v11, v11, 2.0, -v17
	;; [unrolled: 1-line block ×4, first 2 shown]
	v_pack_b32_f16 v12, v12, v17
	v_pack_b32_f16 v15, v15, v21
	v_fma_f16 v17, v22, 2.0, -v24
	v_fma_f16 v21, v23, 2.0, -v10
	;; [unrolled: 1-line block ×4, first 2 shown]
	v_pack_b32_f16 v10, v24, v10
	v_pack_b32_f16 v11, v16, v11
	v_pack_b32_f16 v16, v17, v21
	v_pack_b32_f16 v14, v20, v14
	v_pack_b32_f16 v17, v22, v23
	v_pack_b32_f16 v13, v30, v13
	ds_write2_b32 v26, v10, v12 offset0:104 offset1:156
	ds_write2_b32 v26, v16, v11 offset1:52
	ds_write2_b32 v27, v17, v14 offset1:52
	ds_write2_b32 v27, v13, v15 offset0:104 offset1:156
	s_waitcnt lgkmcnt(0)
	s_barrier
	buffer_gl0_inv
	s_clause 0x2
	global_load_dword v20, v[5:6], off offset:780
	global_load_dword v21, v18, s[8:9] offset:780
	global_load_dword v22, v29, s[8:9] offset:780
	ds_read2_b32 v[10:11], v8 offset1:208
	ds_read2_b32 v[12:13], v9 offset0:32 offset1:240
	v_add_nc_u32_e32 v14, 0, v29
	ds_read2_b32 v[16:17], v7 offset0:32 offset1:240
	v_add_co_u32 v23, s0, s8, v3
	v_add_co_ci_u32_e64 v24, s0, s9, v4, s0
	v_add_nc_u32_e32 v25, 0xd00, v14
	ds_read2_b32 v[14:15], v19 offset1:208
	v_add_nc_u32_e32 v18, 0, v18
	v_add_co_u32 v3, s0, 0x800, v23
	v_add_co_ci_u32_e64 v4, s0, 0, v24, s0
	v_add_nc_u32_e32 v18, 0x1300, v18
	s_waitcnt vmcnt(0) lgkmcnt(0)
	s_barrier
	buffer_gl0_inv
	v_pk_mul_f16 v26, v20, v10 op_sel:[0,1]
	v_pk_mul_f16 v27, v20, v11 op_sel:[0,1]
	;; [unrolled: 1-line block ×4, first 2 shown]
	v_pk_fma_f16 v30, v20, v10, v26 op_sel:[0,0,1] op_sel_hi:[1,1,0]
	v_pk_fma_f16 v10, v20, v10, v26 op_sel:[0,0,1] op_sel_hi:[1,0,0] neg_lo:[1,0,0] neg_hi:[1,0,0]
	v_pk_fma_f16 v26, v20, v11, v27 op_sel:[0,0,1] op_sel_hi:[1,1,0]
	v_pk_fma_f16 v11, v20, v11, v27 op_sel:[0,0,1] op_sel_hi:[1,0,0] neg_lo:[1,0,0] neg_hi:[1,0,0]
	;; [unrolled: 2-line block ×4, first 2 shown]
	v_bfi_b32 v10, 0xffff, v30, v10
	v_bfi_b32 v11, 0xffff, v26, v11
	v_bfi_b32 v12, 0xffff, v27, v12
	v_bfi_b32 v13, 0xffff, v20, v13
	v_pk_add_f16 v10, v14, v10 neg_lo:[0,1] neg_hi:[0,1]
	v_pk_add_f16 v11, v15, v11 neg_lo:[0,1] neg_hi:[0,1]
	;; [unrolled: 1-line block ×4, first 2 shown]
	v_pk_fma_f16 v14, v14, 2.0, v10 op_sel_hi:[1,0,1] neg_lo:[0,0,1] neg_hi:[0,0,1]
	v_pk_fma_f16 v15, v15, 2.0, v11 op_sel_hi:[1,0,1] neg_lo:[0,0,1] neg_hi:[0,0,1]
	;; [unrolled: 1-line block ×4, first 2 shown]
	ds_write2_b32 v19, v14, v10 offset1:208
	ds_write2_b32 v7, v15, v11 offset0:32 offset1:240
	ds_write2_b32 v25, v16, v12 offset1:208
	ds_write2_b32 v18, v17, v13 offset0:32 offset1:240
	s_waitcnt lgkmcnt(0)
	s_barrier
	buffer_gl0_inv
	s_clause 0x1
	global_load_dword v16, v[5:6], off offset:1612
	global_load_dword v17, v[3:4], off offset:396
	ds_read2_b32 v[3:4], v8 offset1:208
	ds_read2_b32 v[10:11], v9 offset0:32 offset1:240
	ds_read2_b32 v[12:13], v19 offset1:208
	ds_read2_b32 v[14:15], v7 offset0:32 offset1:240
	v_add_co_u32 v5, s0, 0x800, v5
	v_add_co_ci_u32_e64 v6, s0, 0, v6, s0
	s_waitcnt vmcnt(0) lgkmcnt(0)
	s_barrier
	buffer_gl0_inv
	v_pk_mul_f16 v18, v16, v3 op_sel:[0,1]
	v_pk_mul_f16 v20, v17, v4 op_sel:[0,1]
	;; [unrolled: 1-line block ×4, first 2 shown]
	v_pk_fma_f16 v25, v16, v3, v18 op_sel:[0,0,1] op_sel_hi:[1,1,0]
	v_pk_fma_f16 v18, v16, v3, v18 op_sel:[0,0,1] op_sel_hi:[1,0,0] neg_lo:[1,0,0] neg_hi:[1,0,0]
	v_pk_fma_f16 v26, v17, v4, v20 op_sel:[0,0,1] op_sel_hi:[1,1,0]
	v_pk_fma_f16 v20, v17, v4, v20 op_sel:[0,0,1] op_sel_hi:[1,0,0] neg_lo:[1,0,0] neg_hi:[1,0,0]
	;; [unrolled: 2-line block ×4, first 2 shown]
	v_bfi_b32 v17, 0xffff, v25, v18
	v_bfi_b32 v18, 0xffff, v26, v20
	;; [unrolled: 1-line block ×3, first 2 shown]
	v_add_co_u32 v3, s0, 0x1000, v23
	v_bfi_b32 v11, 0xffff, v16, v11
	v_pk_add_f16 v16, v12, v17 neg_lo:[0,1] neg_hi:[0,1]
	v_pk_add_f16 v17, v13, v18 neg_lo:[0,1] neg_hi:[0,1]
	v_pk_add_f16 v10, v14, v10 neg_lo:[0,1] neg_hi:[0,1]
	v_add_co_ci_u32_e64 v4, s0, 0, v24, s0
	v_pk_add_f16 v11, v15, v11 neg_lo:[0,1] neg_hi:[0,1]
	v_pk_fma_f16 v12, v12, 2.0, v16 op_sel_hi:[1,0,1] neg_lo:[0,0,1] neg_hi:[0,0,1]
	v_pk_fma_f16 v13, v13, 2.0, v17 op_sel_hi:[1,0,1] neg_lo:[0,0,1] neg_hi:[0,0,1]
	;; [unrolled: 1-line block ×4, first 2 shown]
	ds_write2_b32 v7, v16, v17 offset0:32 offset1:240
	ds_write2_b32 v9, v10, v11 offset0:32 offset1:240
	ds_write2_b32 v19, v12, v13 offset1:208
	ds_write2_b32 v8, v14, v15 offset1:208
	s_waitcnt lgkmcnt(0)
	s_barrier
	buffer_gl0_inv
	s_clause 0x3
	global_load_dword v14, v[5:6], off offset:1228
	global_load_dword v15, v[3:4], off offset:12
	;; [unrolled: 1-line block ×4, first 2 shown]
	ds_read2_b32 v[3:4], v8 offset1:208
	ds_read2_b32 v[5:6], v9 offset0:32 offset1:240
	ds_read2_b32 v[10:11], v19 offset1:208
	ds_read2_b32 v[12:13], v7 offset0:32 offset1:240
	s_waitcnt vmcnt(0) lgkmcnt(0)
	s_barrier
	buffer_gl0_inv
	v_pk_mul_f16 v18, v14, v3 op_sel:[0,1]
	v_pk_mul_f16 v20, v15, v4 op_sel:[0,1]
	;; [unrolled: 1-line block ×4, first 2 shown]
	v_pk_fma_f16 v23, v14, v3, v18 op_sel:[0,0,1] op_sel_hi:[1,1,0]
	v_pk_fma_f16 v3, v14, v3, v18 op_sel:[0,0,1] op_sel_hi:[1,0,0] neg_lo:[1,0,0] neg_hi:[1,0,0]
	v_pk_fma_f16 v14, v15, v4, v20 op_sel:[0,0,1] op_sel_hi:[1,1,0]
	v_pk_fma_f16 v4, v15, v4, v20 op_sel:[0,0,1] op_sel_hi:[1,0,0] neg_lo:[1,0,0] neg_hi:[1,0,0]
	;; [unrolled: 2-line block ×4, first 2 shown]
	v_bfi_b32 v3, 0xffff, v23, v3
	v_bfi_b32 v4, 0xffff, v14, v4
	;; [unrolled: 1-line block ×4, first 2 shown]
	v_pk_add_f16 v3, v10, v3 neg_lo:[0,1] neg_hi:[0,1]
	v_pk_add_f16 v4, v11, v4 neg_lo:[0,1] neg_hi:[0,1]
	;; [unrolled: 1-line block ×4, first 2 shown]
	v_pk_fma_f16 v10, v10, 2.0, v3 op_sel_hi:[1,0,1] neg_lo:[0,0,1] neg_hi:[0,0,1]
	v_pk_fma_f16 v11, v11, 2.0, v4 op_sel_hi:[1,0,1] neg_lo:[0,0,1] neg_hi:[0,0,1]
	;; [unrolled: 1-line block ×4, first 2 shown]
	ds_write2_b32 v8, v3, v4 offset1:208
	ds_write2_b32 v9, v5, v6 offset0:32 offset1:240
	ds_write2_b32 v19, v10, v11 offset1:208
	ds_write2_b32 v7, v12, v13 offset0:32 offset1:240
	s_waitcnt lgkmcnt(0)
	s_barrier
	buffer_gl0_inv
	s_and_saveexec_b32 s0, vcc_lo
	s_cbranch_execz .LBB0_21
; %bb.20:
	v_lshl_add_u32 v14, v2, 2, 0
	v_mov_b32_e32 v3, 0
	v_add_nc_u32_e32 v4, 0xd0, v2
	v_add_co_u32 v16, vcc_lo, s2, v0
	v_add_nc_u32_e32 v9, 0x600, v14
	ds_read2_b32 v[6:7], v14 offset1:208
	v_mov_b32_e32 v5, v3
	v_add_co_ci_u32_e32 v17, vcc_lo, s3, v1, vcc_lo
	ds_read2_b32 v[10:11], v9 offset0:32 offset1:240
	v_lshlrev_b64 v[0:1], 2, v[2:3]
	v_add_nc_u32_e32 v8, 0x1a0, v2
	v_mov_b32_e32 v9, v3
	v_lshlrev_b64 v[4:5], 2, v[4:5]
	v_add_nc_u32_e32 v12, 0x270, v2
	v_mov_b32_e32 v13, v3
	v_add_co_u32 v0, vcc_lo, v16, v0
	v_lshlrev_b64 v[8:9], 2, v[8:9]
	v_add_co_ci_u32_e32 v1, vcc_lo, v17, v1, vcc_lo
	v_add_co_u32 v4, vcc_lo, v16, v4
	v_add_co_ci_u32_e32 v5, vcc_lo, v17, v5, vcc_lo
	v_add_co_u32 v8, vcc_lo, v16, v8
	v_add_co_ci_u32_e32 v9, vcc_lo, v17, v9, vcc_lo
	s_waitcnt lgkmcnt(1)
	global_store_dword v[0:1], v6, off
	global_store_dword v[4:5], v7, off
	s_waitcnt lgkmcnt(0)
	global_store_dword v[8:9], v10, off
	v_add_nc_u32_e32 v8, 0xd00, v14
	v_add_nc_u32_e32 v4, 0x340, v2
	v_mov_b32_e32 v5, v3
	v_add_nc_u32_e32 v10, 0x1300, v14
	v_lshlrev_b64 v[0:1], 2, v[12:13]
	v_add_nc_u32_e32 v6, 0x410, v2
	v_mov_b32_e32 v7, v3
	ds_read2_b32 v[8:9], v8 offset1:208
	v_lshlrev_b64 v[4:5], 2, v[4:5]
	v_add_nc_u32_e32 v12, 0x4e0, v2
	ds_read2_b32 v[14:15], v10 offset0:32 offset1:240
	v_add_co_u32 v0, vcc_lo, v16, v0
	v_lshlrev_b64 v[6:7], 2, v[6:7]
	v_add_nc_u32_e32 v2, 0x5b0, v2
	v_add_co_ci_u32_e32 v1, vcc_lo, v17, v1, vcc_lo
	v_add_co_u32 v4, vcc_lo, v16, v4
	v_lshlrev_b64 v[12:13], 2, v[12:13]
	v_add_co_ci_u32_e32 v5, vcc_lo, v17, v5, vcc_lo
	v_add_co_u32 v6, vcc_lo, v16, v6
	v_lshlrev_b64 v[2:3], 2, v[2:3]
	v_add_co_ci_u32_e32 v7, vcc_lo, v17, v7, vcc_lo
	v_add_co_u32 v12, vcc_lo, v16, v12
	v_add_co_ci_u32_e32 v13, vcc_lo, v17, v13, vcc_lo
	v_add_co_u32 v2, vcc_lo, v16, v2
	v_add_co_ci_u32_e32 v3, vcc_lo, v17, v3, vcc_lo
	global_store_dword v[0:1], v11, off
	s_waitcnt lgkmcnt(1)
	global_store_dword v[4:5], v8, off
	global_store_dword v[6:7], v9, off
	s_waitcnt lgkmcnt(0)
	global_store_dword v[12:13], v14, off
	global_store_dword v[2:3], v15, off
.LBB0_21:
	s_endpgm
	.section	.rodata,"a",@progbits
	.p2align	6, 0x0
	.amdhsa_kernel fft_rtc_back_len1664_factors_13_2_2_4_2_2_2_wgs_208_tpt_208_halfLds_half_ip_CI_unitstride_sbrr_C2R_dirReg
		.amdhsa_group_segment_fixed_size 0
		.amdhsa_private_segment_fixed_size 0
		.amdhsa_kernarg_size 88
		.amdhsa_user_sgpr_count 6
		.amdhsa_user_sgpr_private_segment_buffer 1
		.amdhsa_user_sgpr_dispatch_ptr 0
		.amdhsa_user_sgpr_queue_ptr 0
		.amdhsa_user_sgpr_kernarg_segment_ptr 1
		.amdhsa_user_sgpr_dispatch_id 0
		.amdhsa_user_sgpr_flat_scratch_init 0
		.amdhsa_user_sgpr_private_segment_size 0
		.amdhsa_wavefront_size32 1
		.amdhsa_uses_dynamic_stack 0
		.amdhsa_system_sgpr_private_segment_wavefront_offset 0
		.amdhsa_system_sgpr_workgroup_id_x 1
		.amdhsa_system_sgpr_workgroup_id_y 0
		.amdhsa_system_sgpr_workgroup_id_z 0
		.amdhsa_system_sgpr_workgroup_info 0
		.amdhsa_system_vgpr_workitem_id 0
		.amdhsa_next_free_vgpr 91
		.amdhsa_next_free_sgpr 21
		.amdhsa_reserve_vcc 1
		.amdhsa_reserve_flat_scratch 0
		.amdhsa_float_round_mode_32 0
		.amdhsa_float_round_mode_16_64 0
		.amdhsa_float_denorm_mode_32 3
		.amdhsa_float_denorm_mode_16_64 3
		.amdhsa_dx10_clamp 1
		.amdhsa_ieee_mode 1
		.amdhsa_fp16_overflow 0
		.amdhsa_workgroup_processor_mode 1
		.amdhsa_memory_ordered 1
		.amdhsa_forward_progress 0
		.amdhsa_shared_vgpr_count 0
		.amdhsa_exception_fp_ieee_invalid_op 0
		.amdhsa_exception_fp_denorm_src 0
		.amdhsa_exception_fp_ieee_div_zero 0
		.amdhsa_exception_fp_ieee_overflow 0
		.amdhsa_exception_fp_ieee_underflow 0
		.amdhsa_exception_fp_ieee_inexact 0
		.amdhsa_exception_int_div_zero 0
	.end_amdhsa_kernel
	.text
.Lfunc_end0:
	.size	fft_rtc_back_len1664_factors_13_2_2_4_2_2_2_wgs_208_tpt_208_halfLds_half_ip_CI_unitstride_sbrr_C2R_dirReg, .Lfunc_end0-fft_rtc_back_len1664_factors_13_2_2_4_2_2_2_wgs_208_tpt_208_halfLds_half_ip_CI_unitstride_sbrr_C2R_dirReg
                                        ; -- End function
	.section	.AMDGPU.csdata,"",@progbits
; Kernel info:
; codeLenInByte = 8864
; NumSgprs: 23
; NumVgprs: 91
; ScratchSize: 0
; MemoryBound: 0
; FloatMode: 240
; IeeeMode: 1
; LDSByteSize: 0 bytes/workgroup (compile time only)
; SGPRBlocks: 2
; VGPRBlocks: 11
; NumSGPRsForWavesPerEU: 23
; NumVGPRsForWavesPerEU: 91
; Occupancy: 10
; WaveLimiterHint : 1
; COMPUTE_PGM_RSRC2:SCRATCH_EN: 0
; COMPUTE_PGM_RSRC2:USER_SGPR: 6
; COMPUTE_PGM_RSRC2:TRAP_HANDLER: 0
; COMPUTE_PGM_RSRC2:TGID_X_EN: 1
; COMPUTE_PGM_RSRC2:TGID_Y_EN: 0
; COMPUTE_PGM_RSRC2:TGID_Z_EN: 0
; COMPUTE_PGM_RSRC2:TIDIG_COMP_CNT: 0
	.text
	.p2alignl 6, 3214868480
	.fill 48, 4, 3214868480
	.type	__hip_cuid_9781341d3c807c2d,@object ; @__hip_cuid_9781341d3c807c2d
	.section	.bss,"aw",@nobits
	.globl	__hip_cuid_9781341d3c807c2d
__hip_cuid_9781341d3c807c2d:
	.byte	0                               ; 0x0
	.size	__hip_cuid_9781341d3c807c2d, 1

	.ident	"AMD clang version 19.0.0git (https://github.com/RadeonOpenCompute/llvm-project roc-6.4.0 25133 c7fe45cf4b819c5991fe208aaa96edf142730f1d)"
	.section	".note.GNU-stack","",@progbits
	.addrsig
	.addrsig_sym __hip_cuid_9781341d3c807c2d
	.amdgpu_metadata
---
amdhsa.kernels:
  - .args:
      - .actual_access:  read_only
        .address_space:  global
        .offset:         0
        .size:           8
        .value_kind:     global_buffer
      - .offset:         8
        .size:           8
        .value_kind:     by_value
      - .actual_access:  read_only
        .address_space:  global
        .offset:         16
        .size:           8
        .value_kind:     global_buffer
      - .actual_access:  read_only
        .address_space:  global
        .offset:         24
        .size:           8
        .value_kind:     global_buffer
      - .offset:         32
        .size:           8
        .value_kind:     by_value
      - .actual_access:  read_only
        .address_space:  global
        .offset:         40
        .size:           8
        .value_kind:     global_buffer
      - .actual_access:  read_only
        .address_space:  global
        .offset:         48
        .size:           8
        .value_kind:     global_buffer
      - .offset:         56
        .size:           4
        .value_kind:     by_value
      - .actual_access:  read_only
        .address_space:  global
        .offset:         64
        .size:           8
        .value_kind:     global_buffer
      - .actual_access:  read_only
        .address_space:  global
        .offset:         72
        .size:           8
        .value_kind:     global_buffer
      - .address_space:  global
        .offset:         80
        .size:           8
        .value_kind:     global_buffer
    .group_segment_fixed_size: 0
    .kernarg_segment_align: 8
    .kernarg_segment_size: 88
    .language:       OpenCL C
    .language_version:
      - 2
      - 0
    .max_flat_workgroup_size: 208
    .name:           fft_rtc_back_len1664_factors_13_2_2_4_2_2_2_wgs_208_tpt_208_halfLds_half_ip_CI_unitstride_sbrr_C2R_dirReg
    .private_segment_fixed_size: 0
    .sgpr_count:     23
    .sgpr_spill_count: 0
    .symbol:         fft_rtc_back_len1664_factors_13_2_2_4_2_2_2_wgs_208_tpt_208_halfLds_half_ip_CI_unitstride_sbrr_C2R_dirReg.kd
    .uniform_work_group_size: 1
    .uses_dynamic_stack: false
    .vgpr_count:     91
    .vgpr_spill_count: 0
    .wavefront_size: 32
    .workgroup_processor_mode: 1
amdhsa.target:   amdgcn-amd-amdhsa--gfx1030
amdhsa.version:
  - 1
  - 2
...

	.end_amdgpu_metadata
